;; amdgpu-corpus repo=ROCm/rocFFT kind=compiled arch=gfx1030 opt=O3
	.text
	.amdgcn_target "amdgcn-amd-amdhsa--gfx1030"
	.amdhsa_code_object_version 6
	.protected	fft_rtc_fwd_len390_factors_13_3_10_wgs_117_tpt_39_half_op_CI_CI_unitstride_sbrr_dirReg ; -- Begin function fft_rtc_fwd_len390_factors_13_3_10_wgs_117_tpt_39_half_op_CI_CI_unitstride_sbrr_dirReg
	.globl	fft_rtc_fwd_len390_factors_13_3_10_wgs_117_tpt_39_half_op_CI_CI_unitstride_sbrr_dirReg
	.p2align	8
	.type	fft_rtc_fwd_len390_factors_13_3_10_wgs_117_tpt_39_half_op_CI_CI_unitstride_sbrr_dirReg,@function
fft_rtc_fwd_len390_factors_13_3_10_wgs_117_tpt_39_half_op_CI_CI_unitstride_sbrr_dirReg: ; @fft_rtc_fwd_len390_factors_13_3_10_wgs_117_tpt_39_half_op_CI_CI_unitstride_sbrr_dirReg
; %bb.0:
	s_load_dwordx4 s[12:15], s[4:5], 0x0
	v_mul_u32_u24_e32 v1, 0x691, v0
	s_clause 0x1
	s_load_dwordx4 s[8:11], s[4:5], 0x58
	s_load_dwordx4 s[16:19], s[4:5], 0x18
	v_mov_b32_e32 v5, 0
	v_mov_b32_e32 v10, 0
	;; [unrolled: 1-line block ×3, first 2 shown]
	v_lshrrev_b32_e32 v1, 16, v1
	v_mad_u64_u32 v[8:9], null, s6, 3, v[1:2]
	v_mov_b32_e32 v9, v5
	v_mov_b32_e32 v1, v10
	;; [unrolled: 1-line block ×4, first 2 shown]
	s_waitcnt lgkmcnt(0)
	v_cmp_lt_u64_e64 s0, s[14:15], 2
	v_mov_b32_e32 v4, v9
	s_and_b32 vcc_lo, exec_lo, s0
	s_cbranch_vccnz .LBB0_8
; %bb.1:
	s_load_dwordx2 s[0:1], s[4:5], 0x10
	v_mov_b32_e32 v10, 0
	v_mov_b32_e32 v11, 0
	s_add_u32 s2, s18, 8
	v_mov_b32_e32 v13, v9
	s_addc_u32 s3, s19, 0
	v_mov_b32_e32 v1, v10
	v_mov_b32_e32 v12, v8
	s_add_u32 s6, s16, 8
	v_mov_b32_e32 v2, v11
	s_addc_u32 s7, s17, 0
	s_mov_b64 s[22:23], 1
	s_waitcnt lgkmcnt(0)
	s_add_u32 s20, s0, 8
	s_addc_u32 s21, s1, 0
.LBB0_2:                                ; =>This Inner Loop Header: Depth=1
	s_load_dwordx2 s[24:25], s[20:21], 0x0
                                        ; implicit-def: $vgpr3_vgpr4
	s_mov_b32 s0, exec_lo
	s_waitcnt lgkmcnt(0)
	v_or_b32_e32 v6, s25, v13
	v_cmpx_ne_u64_e32 0, v[5:6]
	s_xor_b32 s1, exec_lo, s0
	s_cbranch_execz .LBB0_4
; %bb.3:                                ;   in Loop: Header=BB0_2 Depth=1
	v_cvt_f32_u32_e32 v3, s24
	v_cvt_f32_u32_e32 v4, s25
	s_sub_u32 s0, 0, s24
	s_subb_u32 s26, 0, s25
	v_fmac_f32_e32 v3, 0x4f800000, v4
	v_rcp_f32_e32 v3, v3
	v_mul_f32_e32 v3, 0x5f7ffffc, v3
	v_mul_f32_e32 v4, 0x2f800000, v3
	v_trunc_f32_e32 v4, v4
	v_fmac_f32_e32 v3, 0xcf800000, v4
	v_cvt_u32_f32_e32 v4, v4
	v_cvt_u32_f32_e32 v3, v3
	v_mul_lo_u32 v6, s0, v4
	v_mul_hi_u32 v7, s0, v3
	v_mul_lo_u32 v9, s26, v3
	v_add_nc_u32_e32 v6, v7, v6
	v_mul_lo_u32 v7, s0, v3
	v_add_nc_u32_e32 v6, v6, v9
	v_mul_hi_u32 v9, v3, v7
	v_mul_lo_u32 v14, v3, v6
	v_mul_hi_u32 v15, v3, v6
	v_mul_hi_u32 v16, v4, v7
	v_mul_lo_u32 v7, v4, v7
	v_mul_hi_u32 v17, v4, v6
	v_mul_lo_u32 v6, v4, v6
	v_add_co_u32 v9, vcc_lo, v9, v14
	v_add_co_ci_u32_e32 v14, vcc_lo, 0, v15, vcc_lo
	v_add_co_u32 v7, vcc_lo, v9, v7
	v_add_co_ci_u32_e32 v7, vcc_lo, v14, v16, vcc_lo
	v_add_co_ci_u32_e32 v9, vcc_lo, 0, v17, vcc_lo
	v_add_co_u32 v6, vcc_lo, v7, v6
	v_add_co_ci_u32_e32 v7, vcc_lo, 0, v9, vcc_lo
	v_add_co_u32 v3, vcc_lo, v3, v6
	v_add_co_ci_u32_e32 v4, vcc_lo, v4, v7, vcc_lo
	v_mul_hi_u32 v6, s0, v3
	v_mul_lo_u32 v9, s26, v3
	v_mul_lo_u32 v7, s0, v4
	v_add_nc_u32_e32 v6, v6, v7
	v_mul_lo_u32 v7, s0, v3
	v_add_nc_u32_e32 v6, v6, v9
	v_mul_hi_u32 v9, v3, v7
	v_mul_lo_u32 v14, v3, v6
	v_mul_hi_u32 v15, v3, v6
	v_mul_hi_u32 v16, v4, v7
	v_mul_lo_u32 v7, v4, v7
	v_mul_hi_u32 v17, v4, v6
	v_mul_lo_u32 v6, v4, v6
	v_add_co_u32 v9, vcc_lo, v9, v14
	v_add_co_ci_u32_e32 v14, vcc_lo, 0, v15, vcc_lo
	v_add_co_u32 v7, vcc_lo, v9, v7
	v_add_co_ci_u32_e32 v7, vcc_lo, v14, v16, vcc_lo
	v_add_co_ci_u32_e32 v9, vcc_lo, 0, v17, vcc_lo
	v_add_co_u32 v6, vcc_lo, v7, v6
	v_add_co_ci_u32_e32 v7, vcc_lo, 0, v9, vcc_lo
	v_add_co_u32 v6, vcc_lo, v3, v6
	v_add_co_ci_u32_e32 v9, vcc_lo, v4, v7, vcc_lo
	v_mul_hi_u32 v16, v12, v6
	v_mad_u64_u32 v[6:7], null, v13, v6, 0
	v_mad_u64_u32 v[3:4], null, v12, v9, 0
	;; [unrolled: 1-line block ×3, first 2 shown]
	v_add_co_u32 v3, vcc_lo, v16, v3
	v_add_co_ci_u32_e32 v4, vcc_lo, 0, v4, vcc_lo
	v_add_co_u32 v3, vcc_lo, v3, v6
	v_add_co_ci_u32_e32 v3, vcc_lo, v4, v7, vcc_lo
	v_add_co_ci_u32_e32 v4, vcc_lo, 0, v15, vcc_lo
	v_add_co_u32 v6, vcc_lo, v3, v14
	v_add_co_ci_u32_e32 v7, vcc_lo, 0, v4, vcc_lo
	v_mul_lo_u32 v9, s25, v6
	v_mad_u64_u32 v[3:4], null, s24, v6, 0
	v_mul_lo_u32 v14, s24, v7
	v_sub_co_u32 v3, vcc_lo, v12, v3
	v_add3_u32 v4, v4, v14, v9
	v_sub_nc_u32_e32 v9, v13, v4
	v_subrev_co_ci_u32_e64 v9, s0, s25, v9, vcc_lo
	v_add_co_u32 v14, s0, v6, 2
	v_add_co_ci_u32_e64 v15, s0, 0, v7, s0
	v_sub_co_u32 v16, s0, v3, s24
	v_sub_co_ci_u32_e32 v4, vcc_lo, v13, v4, vcc_lo
	v_subrev_co_ci_u32_e64 v9, s0, 0, v9, s0
	v_cmp_le_u32_e32 vcc_lo, s24, v16
	v_cmp_eq_u32_e64 s0, s25, v4
	v_cndmask_b32_e64 v16, 0, -1, vcc_lo
	v_cmp_le_u32_e32 vcc_lo, s25, v9
	v_cndmask_b32_e64 v17, 0, -1, vcc_lo
	v_cmp_le_u32_e32 vcc_lo, s24, v3
	;; [unrolled: 2-line block ×3, first 2 shown]
	v_cndmask_b32_e64 v18, 0, -1, vcc_lo
	v_cmp_eq_u32_e32 vcc_lo, s25, v9
	v_cndmask_b32_e64 v3, v18, v3, s0
	v_cndmask_b32_e32 v9, v17, v16, vcc_lo
	v_add_co_u32 v16, vcc_lo, v6, 1
	v_add_co_ci_u32_e32 v17, vcc_lo, 0, v7, vcc_lo
	v_cmp_ne_u32_e32 vcc_lo, 0, v9
	v_cndmask_b32_e32 v4, v17, v15, vcc_lo
	v_cndmask_b32_e32 v9, v16, v14, vcc_lo
	v_cmp_ne_u32_e32 vcc_lo, 0, v3
	v_cndmask_b32_e32 v4, v7, v4, vcc_lo
	v_cndmask_b32_e32 v3, v6, v9, vcc_lo
.LBB0_4:                                ;   in Loop: Header=BB0_2 Depth=1
	s_andn2_saveexec_b32 s0, s1
	s_cbranch_execz .LBB0_6
; %bb.5:                                ;   in Loop: Header=BB0_2 Depth=1
	v_cvt_f32_u32_e32 v3, s24
	s_sub_i32 s1, 0, s24
	v_rcp_iflag_f32_e32 v3, v3
	v_mul_f32_e32 v3, 0x4f7ffffe, v3
	v_cvt_u32_f32_e32 v3, v3
	v_mul_lo_u32 v4, s1, v3
	v_mul_hi_u32 v4, v3, v4
	v_add_nc_u32_e32 v3, v3, v4
	v_mul_hi_u32 v3, v12, v3
	v_mul_lo_u32 v4, v3, s24
	v_add_nc_u32_e32 v6, 1, v3
	v_sub_nc_u32_e32 v4, v12, v4
	v_subrev_nc_u32_e32 v7, s24, v4
	v_cmp_le_u32_e32 vcc_lo, s24, v4
	v_cndmask_b32_e32 v4, v4, v7, vcc_lo
	v_cndmask_b32_e32 v3, v3, v6, vcc_lo
	v_cmp_le_u32_e32 vcc_lo, s24, v4
	v_add_nc_u32_e32 v6, 1, v3
	v_mov_b32_e32 v4, v5
	v_cndmask_b32_e32 v3, v3, v6, vcc_lo
.LBB0_6:                                ;   in Loop: Header=BB0_2 Depth=1
	s_or_b32 exec_lo, exec_lo, s0
	v_mul_lo_u32 v9, v4, s24
	v_mul_lo_u32 v14, v3, s25
	s_load_dwordx2 s[0:1], s[6:7], 0x0
	v_mad_u64_u32 v[6:7], null, v3, s24, 0
	s_load_dwordx2 s[24:25], s[2:3], 0x0
	s_add_u32 s22, s22, 1
	s_addc_u32 s23, s23, 0
	s_add_u32 s2, s2, 8
	s_addc_u32 s3, s3, 0
	s_add_u32 s6, s6, 8
	v_add3_u32 v7, v7, v14, v9
	v_sub_co_u32 v6, vcc_lo, v12, v6
	s_addc_u32 s7, s7, 0
	s_add_u32 s20, s20, 8
	v_sub_co_ci_u32_e32 v7, vcc_lo, v13, v7, vcc_lo
	s_addc_u32 s21, s21, 0
	s_waitcnt lgkmcnt(0)
	v_mul_lo_u32 v9, s0, v7
	v_mul_lo_u32 v12, s1, v6
	v_mad_u64_u32 v[10:11], null, s0, v6, v[10:11]
	v_mul_lo_u32 v7, s24, v7
	v_mul_lo_u32 v13, s25, v6
	v_mad_u64_u32 v[1:2], null, s24, v6, v[1:2]
	v_cmp_ge_u64_e64 s0, s[22:23], s[14:15]
	v_add3_u32 v11, v12, v11, v9
	v_add3_u32 v2, v13, v2, v7
	s_and_b32 vcc_lo, exec_lo, s0
	s_cbranch_vccnz .LBB0_8
; %bb.7:                                ;   in Loop: Header=BB0_2 Depth=1
	v_mov_b32_e32 v13, v4
	v_mov_b32_e32 v12, v3
	s_branch .LBB0_2
.LBB0_8:
	s_load_dwordx2 s[0:1], s[4:5], 0x28
	s_lshl_b64 s[4:5], s[14:15], 3
	v_mul_hi_u32 v5, 0x6906907, v0
	s_add_u32 s2, s18, s4
	s_addc_u32 s3, s19, s5
                                        ; implicit-def: $vgpr39
                                        ; implicit-def: $vgpr26
                                        ; implicit-def: $vgpr38
                                        ; implicit-def: $vgpr25
                                        ; implicit-def: $vgpr37
                                        ; implicit-def: $vgpr24
                                        ; implicit-def: $vgpr36
                                        ; implicit-def: $vgpr23
                                        ; implicit-def: $vgpr35
                                        ; implicit-def: $vgpr22
                                        ; implicit-def: $vgpr33
                                        ; implicit-def: $vgpr21
                                        ; implicit-def: $vgpr15
                                        ; implicit-def: $vgpr9
                                        ; implicit-def: $vgpr16
                                        ; implicit-def: $vgpr12
                                        ; implicit-def: $vgpr18
                                        ; implicit-def: $vgpr13
                                        ; implicit-def: $vgpr19
                                        ; implicit-def: $vgpr14
                                        ; implicit-def: $vgpr27
                                        ; implicit-def: $vgpr17
                                        ; implicit-def: $vgpr32
                                        ; implicit-def: $vgpr20
	s_load_dwordx2 s[2:3], s[2:3], 0x0
	v_mul_u32_u24_e32 v5, 39, v5
	v_sub_nc_u32_e32 v6, v0, v5
	v_mov_b32_e32 v5, 0
	v_mov_b32_e32 v0, 0
	s_waitcnt lgkmcnt(0)
	v_cmp_gt_u64_e32 vcc_lo, s[0:1], v[3:4]
	s_and_saveexec_b32 s1, vcc_lo
	s_cbranch_execz .LBB0_12
; %bb.9:
	v_cmp_gt_u32_e64 s0, 30, v6
	v_mov_b32_e32 v0, 0
                                        ; implicit-def: $vgpr20
                                        ; implicit-def: $vgpr32
                                        ; implicit-def: $vgpr17
                                        ; implicit-def: $vgpr27
                                        ; implicit-def: $vgpr14
                                        ; implicit-def: $vgpr19
                                        ; implicit-def: $vgpr13
                                        ; implicit-def: $vgpr18
                                        ; implicit-def: $vgpr12
                                        ; implicit-def: $vgpr16
                                        ; implicit-def: $vgpr9
                                        ; implicit-def: $vgpr15
                                        ; implicit-def: $vgpr21
                                        ; implicit-def: $vgpr33
                                        ; implicit-def: $vgpr22
                                        ; implicit-def: $vgpr35
                                        ; implicit-def: $vgpr23
                                        ; implicit-def: $vgpr36
                                        ; implicit-def: $vgpr24
                                        ; implicit-def: $vgpr37
                                        ; implicit-def: $vgpr25
                                        ; implicit-def: $vgpr38
                                        ; implicit-def: $vgpr26
                                        ; implicit-def: $vgpr39
	s_and_saveexec_b32 s6, s0
	s_cbranch_execz .LBB0_11
; %bb.10:
	s_add_u32 s4, s16, s4
	s_addc_u32 s5, s17, s5
	v_mov_b32_e32 v7, 0
	s_load_dwordx2 s[4:5], s[4:5], 0x0
	v_lshlrev_b64 v[9:10], 2, v[10:11]
	s_waitcnt lgkmcnt(0)
	v_mul_lo_u32 v0, s5, v3
	v_mul_lo_u32 v5, s4, v4
	v_mad_u64_u32 v[12:13], null, s4, v3, 0
	v_add3_u32 v13, v13, v5, v0
	v_lshlrev_b64 v[12:13], 2, v[12:13]
	v_add_co_u32 v0, s0, s8, v12
	v_add_co_ci_u32_e64 v5, s0, s9, v13, s0
	v_lshlrev_b64 v[11:12], 2, v[6:7]
	v_add_co_u32 v0, s0, v0, v9
	v_add_co_ci_u32_e64 v5, s0, v5, v10, s0
	v_add_co_u32 v10, s0, v0, v11
	v_add_co_ci_u32_e64 v11, s0, v5, v12, s0
	s_clause 0xc
	global_load_dword v26, v[10:11], off offset:120
	global_load_dword v25, v[10:11], off offset:240
	;; [unrolled: 1-line block ×12, first 2 shown]
	global_load_dword v0, v[10:11], off
	s_waitcnt vmcnt(12)
	v_lshrrev_b32_e32 v39, 16, v26
	s_waitcnt vmcnt(11)
	v_lshrrev_b32_e32 v38, 16, v25
	;; [unrolled: 2-line block ×12, first 2 shown]
.LBB0_11:
	s_or_b32 exec_lo, exec_lo, s6
	v_mov_b32_e32 v5, v6
.LBB0_12:
	s_or_b32 exec_lo, exec_lo, s1
	v_mul_hi_u32 v7, 0xaaaaaaab, v8
	v_add_f16_e32 v50, v26, v9
	v_sub_f16_e32 v10, v39, v15
	v_add_f16_e32 v51, v25, v12
	v_sub_f16_e32 v11, v38, v16
	v_add_f16_e32 v52, v24, v13
	v_mul_f16_e32 v69, 0x2fb7, v50
	v_mul_f16_e32 v67, 0xb5ac, v50
	v_lshrrev_b32_e32 v7, 1, v7
	v_mul_f16_e32 v61, 0xbbc4, v51
	v_mul_f16_e32 v74, 0xb9fd, v51
	v_fmamk_f16 v28, v10, 0xbbf1, v69
	v_fmamk_f16 v29, v10, 0xbb7b, v67
	v_lshl_add_u32 v7, v7, 1, v7
	v_sub_f16_e32 v40, v37, v18
	v_mul_f16_e32 v64, 0xb5ac, v52
	s_waitcnt vmcnt(0)
	v_add_f16_e32 v28, v0, v28
	v_add_f16_e32 v29, v0, v29
	v_sub_nc_u32_e32 v31, v8, v7
	v_fmamk_f16 v7, v11, 0xb3a8, v61
	v_fmamk_f16 v8, v11, 0x394e, v74
	v_mul_f16_e32 v79, 0x3b15, v52
	v_add_f16_e32 v54, v23, v14
	v_sub_f16_e32 v42, v36, v19
	v_add_f16_e32 v7, v28, v7
	v_add_f16_e32 v8, v29, v8
	v_fmamk_f16 v28, v40, 0x3b7b, v64
	v_fmamk_f16 v29, v40, 0x3770, v79
	v_mul_f16_e32 v68, 0x3b15, v54
	v_mul_f16_e32 v80, 0x2fb7, v54
	v_add_f16_e32 v55, v22, v17
	v_add_f16_e32 v7, v7, v28
	;; [unrolled: 1-line block ×3, first 2 shown]
	v_fmamk_f16 v28, v42, 0x3770, v68
	v_fmamk_f16 v29, v42, 0xbbf1, v80
	v_sub_f16_e32 v43, v35, v27
	v_mul_f16_e32 v71, 0x388b, v55
	v_mul_f16_e32 v83, 0xbbc4, v55
	v_add_f16_e32 v56, v21, v20
	v_mul_f16_e32 v53, 0x388b, v50
	v_add_f16_e32 v7, v7, v28
	v_add_f16_e32 v8, v8, v29
	v_fmamk_f16 v28, v43, 0xba95, v71
	v_fmamk_f16 v29, v43, 0x33a8, v83
	v_sub_f16_e32 v41, v33, v32
	v_mul_f16_e32 v72, 0xb9fd, v56
	v_mul_f16_e32 v86, 0x388b, v56
	v_sub_f16_e32 v59, v26, v9
	v_fmamk_f16 v30, v10, 0xba95, v53
	v_mul_f16_e32 v63, 0xb5ac, v51
	v_add_f16_e32 v7, v7, v28
	v_add_f16_e32 v28, v8, v29
	v_fmamk_f16 v8, v41, 0xb94e, v72
	v_fmamk_f16 v29, v41, 0x3a95, v86
	v_add_f16_e32 v45, v39, v15
	v_mul_f16_e32 v81, 0xba95, v59
	v_sub_f16_e32 v57, v25, v12
	v_mul_f16_e32 v75, 0xbb7b, v59
	v_add_f16_e32 v30, v0, v30
	v_fmamk_f16 v34, v11, 0xbb7b, v63
	v_add_f16_e32 v8, v7, v8
	v_add_f16_e32 v7, v28, v29
	v_mul_f16_e32 v89, 0xbbf1, v59
	v_fma_f16 v28, v45, 0x388b, -v81
	v_add_f16_e32 v47, v38, v16
	v_mul_f16_e32 v82, 0xbb7b, v57
	v_fma_f16 v44, v45, 0xb5ac, -v75
	v_mul_f16_e32 v95, 0x394e, v57
	v_sub_f16_e32 v60, v24, v13
	v_add_f16_e32 v29, v30, v34
	v_fma_f16 v30, v45, 0x2fb7, -v89
	v_add_f16_sdwa v28, v0, v28 dst_sel:DWORD dst_unused:UNUSED_PAD src0_sel:WORD_1 src1_sel:DWORD
	v_fma_f16 v34, v47, 0xb5ac, -v82
	v_mul_f16_e32 v90, 0xb3a8, v57
	v_mul_f16_e32 v73, 0xbbc4, v52
	v_add_f16_sdwa v48, v0, v44 dst_sel:DWORD dst_unused:UNUSED_PAD src0_sel:WORD_1 src1_sel:DWORD
	v_fma_f16 v49, v47, 0xb9fd, -v95
	v_add_f16_e32 v44, v37, v18
	v_mul_f16_e32 v84, 0xb3a8, v60
	v_add_f16_sdwa v30, v0, v30 dst_sel:DWORD dst_unused:UNUSED_PAD src0_sel:WORD_1 src1_sel:DWORD
	v_fma_f16 v46, v47, 0xbbc4, -v90
	v_fmamk_f16 v58, v40, 0xb3a8, v73
	v_add_f16_e32 v28, v28, v34
	v_add_f16_e32 v34, v48, v49
	v_fma_f16 v48, v44, 0xbbc4, -v84
	v_sub_f16_e32 v65, v23, v14
	v_mul_f16_e32 v92, 0x3b7b, v60
	v_mul_f16_e32 v96, 0x3770, v60
	;; [unrolled: 1-line block ×3, first 2 shown]
	v_add_f16_e32 v30, v30, v46
	v_add_f16_e32 v29, v29, v58
	;; [unrolled: 1-line block ×3, first 2 shown]
	v_mul_f16_e32 v85, 0x394e, v65
	v_fma_f16 v49, v44, 0xb5ac, -v92
	v_fma_f16 v58, v44, 0x3b15, -v96
	v_add_f16_e32 v28, v28, v48
	v_fmamk_f16 v48, v42, 0x394e, v76
	v_mul_f16_e32 v91, 0x3770, v65
	v_sub_f16_e32 v66, v22, v17
	v_mul_f16_e32 v98, 0xbbf1, v65
	v_fma_f16 v62, v46, 0xb9fd, -v85
	v_add_f16_e32 v30, v30, v49
	v_add_f16_e32 v34, v34, v58
	;; [unrolled: 1-line block ×3, first 2 shown]
	v_fma_f16 v49, v46, 0x3b15, -v91
	v_mul_f16_e32 v77, 0x2fb7, v55
	v_add_f16_e32 v48, v35, v27
	v_mul_f16_e32 v87, 0x3bf1, v66
	v_fma_f16 v58, v46, 0x2fb7, -v98
	v_mul_f16_e32 v93, 0xba95, v66
	v_add_f16_e32 v28, v28, v62
	v_add_f16_e32 v30, v30, v49
	v_fmamk_f16 v49, v43, 0x3bf1, v77
	v_fma_f16 v62, v48, 0x2fb7, -v87
	v_add_f16_e32 v34, v34, v58
	v_fma_f16 v58, v48, 0x388b, -v93
	v_mul_f16_e32 v99, 0x33a8, v66
	v_sub_f16_e32 v70, v21, v20
	v_mul_f16_e32 v78, 0x3b15, v56
	v_add_f16_e32 v29, v29, v49
	v_add_f16_e32 v28, v28, v62
	v_add_f16_e32 v30, v30, v58
	v_fma_f16 v58, v48, 0xbbc4, -v99
	v_add_f16_e32 v49, v33, v32
	v_mul_f16_e32 v88, 0x3770, v70
	v_mul_f16_e32 v94, 0xb94e, v70
	;; [unrolled: 1-line block ×3, first 2 shown]
	v_fmamk_f16 v62, v41, 0x3770, v78
	v_add_f16_e32 v58, v34, v58
	v_fma_f16 v34, v49, 0x3b15, -v88
	v_fma_f16 v100, v49, 0xb9fd, -v94
	;; [unrolled: 1-line block ×3, first 2 shown]
	v_add_f16_e32 v29, v29, v62
	v_mul_u32_u24_e32 v62, 0x186, v31
	v_add_f16_e32 v31, v28, v34
	v_add_f16_e32 v34, v30, v100
	;; [unrolled: 1-line block ×3, first 2 shown]
	s_mov_b32 s1, exec_lo
	v_lshlrev_b32_e32 v30, 2, v62
	v_cmpx_gt_u32_e32 30, v6
	s_cbranch_execz .LBB0_14
; %bb.13:
	v_mul_f16_e32 v100, 0xb3a8, v59
	v_mul_f16_e32 v101, 0x3770, v57
	;; [unrolled: 1-line block ×5, first 2 shown]
	v_fmamk_f16 v58, v45, 0xbbc4, v100
	v_fmamk_f16 v107, v47, 0x3b15, v101
	;; [unrolled: 1-line block ×3, first 2 shown]
	v_mul_f16_e32 v104, 0x3a95, v65
	v_mul_f16_e32 v106, 0xb9fd, v52
	v_add_f16_sdwa v58, v0, v58 dst_sel:DWORD dst_unused:UNUSED_PAD src0_sel:WORD_1 src1_sel:DWORD
	v_fmamk_f16 v109, v11, 0xb770, v105
	v_fmamk_f16 v110, v44, 0xb9fd, v103
	v_add_f16_e32 v62, v0, v62
	v_mul_f16_e32 v108, 0x388b, v54
	v_add_f16_e32 v58, v58, v107
	v_mul_f16_e32 v107, 0xb94e, v59
	v_fmamk_f16 v111, v40, 0x394e, v106
	v_fmamk_f16 v112, v46, 0x388b, v104
	v_add_f16_e32 v62, v62, v109
	v_add_f16_e32 v58, v58, v110
	v_mul_f16_e32 v109, 0xbb7b, v66
	v_fmamk_f16 v113, v45, 0xb9fd, v107
	v_mul_f16_e32 v114, 0x3bf1, v57
	v_mul_f16_e32 v110, 0xb5ac, v55
	v_add_f16_e32 v62, v62, v111
	v_fmamk_f16 v111, v42, 0xba95, v108
	v_add_f16_e32 v58, v58, v112
	v_add_f16_sdwa v112, v0, v113 dst_sel:DWORD dst_unused:UNUSED_PAD src0_sel:WORD_1 src1_sel:DWORD
	v_fmamk_f16 v113, v47, 0x2fb7, v114
	v_mul_f16_e32 v115, 0xba95, v60
	v_fmamk_f16 v116, v48, 0xb5ac, v109
	v_add_f16_e32 v62, v62, v111
	v_fmamk_f16 v111, v43, 0x3b7b, v110
	v_add_f16_e32 v112, v112, v113
	v_fmamk_f16 v113, v44, 0x388b, v115
	v_mul_f16_e32 v117, 0x33a8, v65
	v_add_f16_e32 v58, v58, v116
	v_mul_f16_e32 v116, 0x3bf1, v70
	v_mul_f16_e32 v118, 0x2fb7, v56
	v_add_f16_e32 v112, v112, v113
	v_fmamk_f16 v113, v46, 0xbbc4, v117
	v_mul_f16_e32 v119, 0x3770, v66
	v_add_f16_e32 v62, v62, v111
	v_fmamk_f16 v111, v49, 0x2fb7, v116
	v_fmamk_f16 v120, v41, 0xbbf1, v118
	v_add_f16_e32 v112, v112, v113
	v_fmamk_f16 v113, v48, 0x3b15, v119
	v_mul_f16_e32 v121, 0xbb7b, v70
	v_add_f16_e32 v58, v58, v111
	v_mul_f16_e32 v111, 0xbb7b, v10
	v_add_f16_e32 v62, v62, v120
	v_add_f16_e32 v112, v112, v113
	v_fmamk_f16 v113, v49, 0xb5ac, v121
	v_mul_f16_e32 v120, 0x394e, v11
	v_sub_f16_e32 v111, v67, v111
	v_mul_f16_e32 v123, 0xb9fd, v47
	v_add_f16_sdwa v39, v0, v39 dst_sel:DWORD dst_unused:UNUSED_PAD src0_sel:WORD_1 src1_sel:DWORD
	v_add_f16_e32 v67, v112, v113
	v_sub_f16_e32 v112, v74, v120
	v_add_f16_e32 v111, v0, v111
	v_add_f16_e32 v74, v123, v95
	v_mul_f16_e32 v95, 0x3770, v40
	v_mul_f16_e32 v113, 0x3b15, v44
	v_add_f16_e32 v26, v0, v26
	v_add_f16_e32 v111, v111, v112
	v_mul_f16_e32 v112, 0x2fb7, v45
	v_sub_f16_e32 v79, v79, v95
	v_add_f16_e32 v95, v113, v96
	v_mul_f16_e32 v96, 0xbbc4, v47
	v_mul_f16_e32 v59, 0xb770, v59
	v_add_f16_e32 v89, v112, v89
	v_add_f16_e32 v79, v111, v79
	v_mul_f16_e32 v111, 0xbbf1, v42
	v_add_f16_e32 v90, v96, v90
	v_mul_f16_e32 v96, 0xb5ac, v44
	v_add_f16_sdwa v89, v0, v89 dst_sel:DWORD dst_unused:UNUSED_PAD src0_sel:WORD_1 src1_sel:DWORD
	v_add_f16_e32 v38, v39, v38
	v_sub_f16_e32 v80, v80, v111
	v_mul_f16_e32 v111, 0x33a8, v43
	v_add_f16_e32 v25, v26, v25
	v_add_f16_e32 v89, v89, v90
	;; [unrolled: 1-line block ×3, first 2 shown]
	v_mul_f16_e32 v96, 0x3b15, v46
	v_add_f16_e32 v79, v79, v80
	v_sub_f16_e32 v80, v83, v111
	v_mul_f16_e32 v122, 0xb5ac, v45
	v_add_f16_e32 v83, v89, v90
	v_mul_f16_e32 v89, 0x3a95, v41
	v_add_f16_e32 v90, v96, v91
	;; [unrolled: 2-line block ×3, first 2 shown]
	v_mul_f16_e32 v96, 0x388b, v49
	v_sub_f16_e32 v80, v86, v89
	v_add_f16_e32 v83, v83, v90
	v_add_f16_e32 v86, v91, v93
	v_mul_f16_e32 v90, 0xbbf1, v10
	v_mul_f16_e32 v91, 0xb5ac, v47
	v_add_f16_e32 v89, v96, v97
	v_fma_f16 v96, v46, 0x388b, -v104
	v_add_f16_e32 v83, v83, v86
	v_mul_f16_e32 v86, 0x388b, v45
	v_sub_f16_e32 v69, v69, v90
	v_mul_f16_e32 v90, 0xb3a8, v11
	v_add_f16_e32 v82, v91, v82
	v_fma_f16 v91, v45, 0xbbc4, -v100
	v_add_f16_e32 v81, v86, v81
	v_add_f16_e32 v69, v0, v69
	v_sub_f16_e32 v61, v61, v90
	v_mul_f16_e32 v86, 0x3b7b, v40
	v_fma_f16 v97, v48, 0xb5ac, -v109
	v_add_f16_sdwa v81, v0, v81 dst_sel:DWORD dst_unused:UNUSED_PAD src0_sel:WORD_1 src1_sel:DWORD
	v_add_f16_e32 v79, v79, v80
	v_add_f16_e32 v61, v69, v61
	v_mul_f16_e32 v69, 0xbbc4, v44
	v_sub_f16_e32 v64, v64, v86
	v_add_f16_e32 v81, v81, v82
	v_mul_f16_e32 v82, 0x3770, v42
	v_mul_f16_e32 v86, 0xbb7b, v11
	v_add_f16_e32 v69, v69, v84
	v_add_f16_e32 v61, v61, v64
	v_mul_f16_e32 v64, 0xb9fd, v46
	v_sub_f16_e32 v68, v68, v82
	v_mul_f16_e32 v84, 0xb3a8, v40
	v_add_f16_e32 v69, v81, v69
	v_mul_f16_e32 v82, 0x394e, v42
	v_add_f16_e32 v64, v64, v85
	v_add_f16_e32 v61, v61, v68
	v_mul_f16_e32 v68, 0x2fb7, v48
	v_mul_f16_e32 v81, 0xba95, v43
	v_sub_f16_e32 v73, v73, v84
	v_add_f16_e32 v64, v69, v64
	v_mul_f16_e32 v69, 0xb94e, v41
	v_add_f16_e32 v68, v68, v87
	v_mul_f16_e32 v87, 0xb9fd, v50
	v_mul_f16_e32 v50, 0x3b15, v50
	v_sub_f16_e32 v71, v71, v81
	v_sub_f16_e32 v69, v72, v69
	v_mul_f16_e32 v72, 0x2fb7, v51
	v_mul_f16_e32 v51, 0x388b, v51
	v_fmamk_f16 v84, v10, 0x3770, v50
	v_mul_f16_e32 v81, 0x3770, v41
	v_sub_f16_e32 v76, v76, v82
	v_add_f16_e32 v61, v61, v71
	v_mul_f16_e32 v71, 0x3b15, v49
	v_add_f16_e32 v82, v0, v84
	v_fmamk_f16 v84, v11, 0x3a95, v51
	v_sub_f16_e32 v78, v78, v81
	v_add_f16_e32 v61, v61, v69
	v_add_f16_e32 v71, v71, v88
	v_mul_f16_e32 v88, 0x388b, v52
	v_add_f16_e32 v81, v82, v84
	v_add_f16_sdwa v84, v0, v91 dst_sel:DWORD dst_unused:UNUSED_PAD src0_sel:WORD_1 src1_sel:DWORD
	v_fma_f16 v91, v47, 0x3b15, -v101
	v_mul_f16_e32 v52, 0x2fb7, v52
	v_mul_f16_e32 v69, 0xbbc4, v54
	;; [unrolled: 1-line block ×4, first 2 shown]
	v_add_f16_e32 v84, v84, v91
	v_fma_f16 v91, v44, 0xb9fd, -v103
	v_fmamk_f16 v82, v40, 0x3bf1, v52
	v_sub_f16_e32 v63, v63, v86
	v_mul_f16_e32 v86, 0x3b15, v55
	v_mul_f16_e32 v55, 0xb9fd, v55
	v_add_f16_e32 v84, v84, v91
	v_add_f16_e32 v81, v81, v82
	v_fmamk_f16 v82, v42, 0x3b7b, v54
	v_add_f16_e32 v80, v80, v94
	v_mul_f16_e32 v93, 0xb5ac, v56
	v_add_f16_e32 v84, v84, v96
	v_fmamk_f16 v91, v43, 0x394e, v55
	v_add_f16_e32 v81, v81, v82
	v_fmamk_f16 v82, v45, 0x3b15, v59
	v_mul_f16_e32 v56, 0xbbc4, v56
	v_add_f16_e32 v84, v84, v97
	v_fma_f16 v97, v49, 0x2fb7, -v116
	v_mul_f16_e32 v57, 0xba95, v57
	v_fmac_f16_e32 v102, 0xb3a8, v10
	v_add_f16_e32 v26, v38, v37
	v_add_f16_e32 v24, v25, v24
	v_add_f16_e32 v84, v84, v97
	v_fma_f16 v97, v45, 0xb9fd, -v107
	v_fma_f16 v45, v45, 0x3b15, -v59
	v_add_f16_e32 v80, v83, v80
	v_fmamk_f16 v83, v11, 0xbbf1, v72
	v_mul_f16_e32 v60, 0xbbf1, v60
	v_add_f16_e32 v81, v81, v91
	v_fmamk_f16 v91, v41, 0x33a8, v56
	v_fmamk_f16 v96, v47, 0x388b, v57
	v_add_f16_e32 v100, v0, v102
	v_fmac_f16_e32 v105, 0x3770, v11
	v_add_f16_sdwa v97, v0, v97 dst_sel:DWORD dst_unused:UNUSED_PAD src0_sel:WORD_1 src1_sel:DWORD
	v_fma_f16 v102, v47, 0x2fb7, -v114
	v_fmac_f16_e32 v72, 0x3bf1, v11
	v_add_f16_sdwa v45, v0, v45 dst_sel:DWORD dst_unused:UNUSED_PAD src0_sel:WORD_1 src1_sel:DWORD
	v_fma_f16 v47, v47, 0x388b, -v57
	v_fmac_f16_e32 v51, 0xba95, v11
	v_add_f16_e32 v11, v26, v36
	v_add_f16_e32 v23, v24, v23
	v_mul_f16_e32 v90, 0xba95, v10
	v_mul_f16_e32 v65, 0xbb7b, v65
	v_add_f16_e32 v81, v81, v91
	v_fmamk_f16 v91, v44, 0x2fb7, v60
	v_add_f16_e32 v97, v97, v102
	v_fma_f16 v102, v44, 0x388b, -v115
	v_add_f16_e32 v45, v45, v47
	v_fma_f16 v44, v44, 0x2fb7, -v60
	v_fmac_f16_e32 v50, 0xb770, v10
	v_add_f16_e32 v11, v11, v35
	v_add_f16_e32 v22, v23, v22
	;; [unrolled: 1-line block ×3, first 2 shown]
	v_fmamk_f16 v68, v10, 0x394e, v87
	v_sub_f16_e32 v53, v53, v90
	v_fmac_f16_e32 v87, 0xb94e, v10
	v_add_f16_e32 v10, v45, v44
	v_fma_f16 v25, v46, 0xb5ac, -v65
	v_add_f16_e32 v37, v0, v50
	v_add_f16_e32 v11, v11, v33
	;; [unrolled: 1-line block ×6, first 2 shown]
	v_fmac_f16_e32 v52, 0xbbf1, v40
	v_add_f16_e32 v11, v11, v32
	v_add_f16_e32 v20, v21, v20
	v_pack_b32_f16 v21, v53, v82
	v_mul_f16_e32 v112, 0xbbc4, v48
	v_add_f16_e32 v22, v25, v52
	v_add_f16_e32 v11, v27, v11
	;; [unrolled: 1-line block ×3, first 2 shown]
	v_pk_add_f16 v20, v0, v21
	v_pack_b32_f16 v21, v63, v96
	v_pack_b32_f16 v25, v68, v75
	v_add_f16_e32 v100, v100, v105
	v_fmac_f16_e32 v106, 0xb94e, v40
	v_mul_f16_e32 v120, 0x2fb7, v46
	v_add_f16_e32 v92, v112, v99
	v_mul_f16_e32 v85, 0x3bf1, v43
	v_add_f16_e32 v64, v64, v71
	v_fmamk_f16 v71, v40, 0x3a95, v88
	v_fmamk_f16 v99, v46, 0xb5ac, v65
	v_mul_f16_e32 v66, 0xb94e, v66
	v_add_f16_e32 v87, v0, v87
	v_add_f16_e32 v11, v19, v11
	;; [unrolled: 1-line block ×3, first 2 shown]
	v_pk_add_f16 v17, v20, v21
	v_pack_b32_f16 v19, v73, v91
	v_pk_add_f16 v0, v0, v25
	v_pack_b32_f16 v20, v83, v74
	v_add_f16_e32 v100, v100, v106
	v_fmac_f16_e32 v108, 0x3a95, v42
	v_add_f16_e32 v98, v120, v98
	v_fmamk_f16 v90, v42, 0xb3a8, v69
	v_sub_f16_e32 v77, v77, v85
	v_fmamk_f16 v101, v48, 0xb9fd, v66
	v_mul_f16_e32 v70, 0xb3a8, v70
	v_add_f16_e32 v11, v18, v11
	v_add_f16_e32 v13, v13, v14
	v_pk_add_f16 v14, v17, v19
	v_pack_b32_f16 v17, v76, v99
	v_pk_add_f16 v0, v0, v20
	v_pack_b32_f16 v18, v71, v95
	v_add_f16_e32 v100, v100, v108
	v_fmac_f16_e32 v110, 0xbb7b, v43
	v_add_f16_e32 v97, v97, v102
	v_fma_f16 v102, v46, 0xbbc4, -v117
	v_add_f16_e32 v72, v87, v72
	v_fmac_f16_e32 v88, 0xba95, v40
	v_fmamk_f16 v85, v43, 0xb770, v86
	v_fmamk_f16 v103, v49, 0xbbc4, v70
	v_add_f16_e32 v11, v16, v11
	v_add_f16_e32 v12, v12, v13
	v_pk_add_f16 v13, v14, v17
	v_pack_b32_f16 v14, v77, v101
	v_pk_add_f16 v0, v0, v18
	v_pack_b32_f16 v16, v90, v98
	v_add_f16_e32 v87, v100, v110
	v_add_f16_e32 v97, v97, v102
	v_fma_f16 v100, v48, 0x3b15, -v119
	v_add_f16_e32 v72, v72, v88
	v_fmac_f16_e32 v69, 0x33a8, v42
	v_fmac_f16_e32 v54, 0xbb7b, v42
	v_fmamk_f16 v94, v41, 0x3b7b, v93
	v_add_f16_sdwa v11, v15, v11 dst_sel:WORD_1 dst_unused:UNUSED_PAD src0_sel:DWORD src1_sel:DWORD
	v_add_f16_e32 v9, v9, v12
	v_pk_add_f16 v12, v13, v14
	v_pack_b32_f16 v13, v78, v103
	v_pk_add_f16 v0, v0, v16
	v_pack_b32_f16 v14, v85, v92
	v_add_f16_e32 v59, v97, v100
	v_fma_f16 v88, v49, 0xb5ac, -v121
	v_add_f16_e32 v69, v72, v69
	v_fmac_f16_e32 v86, 0x3770, v43
	v_fma_f16 v24, v48, 0xb9fd, -v66
	v_add_f16_e32 v22, v22, v54
	v_fmac_f16_e32 v55, 0xb94e, v43
	v_mul_u32_u24_e32 v15, 52, v6
	v_pk_add_f16 v12, v12, v13
	v_or_b32_sdwa v9, v11, v9 dst_sel:DWORD dst_unused:UNUSED_PAD src0_sel:DWORD src1_sel:WORD_0
	v_pk_add_f16 v0, v0, v14
	v_pack_b32_f16 v11, v94, v89
	v_fmac_f16_e32 v118, 0x3bf1, v41
	v_add_f16_e32 v57, v59, v88
	v_add_f16_e32 v59, v69, v86
	v_fmac_f16_e32 v93, 0xbb7b, v41
	v_add_f16_e32 v10, v10, v24
	v_fma_f16 v24, v49, 0xbbc4, -v70
	v_add_f16_e32 v22, v22, v55
	v_fmac_f16_e32 v56, 0xb3a8, v41
	v_add3_u32 v13, 0, v15, v30
	v_bfi_b32 v14, 0xffff, v81, v12
	v_pack_b32_f16 v12, v12, v64
	v_pk_add_f16 v0, v0, v11
	v_add_f16_e32 v87, v87, v118
	v_pack_b32_f16 v15, v61, v80
	v_add_f16_e32 v23, v59, v93
	v_add_f16_e32 v10, v10, v24
	;; [unrolled: 1-line block ×3, first 2 shown]
	ds_write2_b32 v13, v14, v12 offset0:1 offset1:2
	ds_write2_b32 v13, v9, v15 offset1:3
	v_bfi_b32 v9, 0xffff, v79, v0
	v_pack_b32_f16 v0, v0, v67
	v_pack_b32_f16 v12, v87, v84
	;; [unrolled: 1-line block ×4, first 2 shown]
	v_perm_b32 v16, v28, v7, 0x5040100
	v_perm_b32 v17, v31, v29, 0x5040100
	;; [unrolled: 1-line block ×3, first 2 shown]
	v_pack_b32_f16 v10, v11, v10
	ds_write2_b32 v13, v9, v0 offset0:4 offset1:5
	ds_write2_b32 v13, v14, v12 offset0:6 offset1:7
	;; [unrolled: 1-line block ×4, first 2 shown]
	ds_write_b32 v13, v10 offset:48
.LBB0_14:
	s_or_b32 exec_lo, exec_lo, s1
	v_lshlrev_b32_e32 v9, 2, v6
	s_waitcnt lgkmcnt(0)
	s_barrier
	buffer_gl0_inv
	v_cmp_gt_u32_e64 s0, 13, v6
	v_add3_u32 v0, 0, v9, v30
	v_add3_u32 v17, 0, v30, v9
	v_add_nc_u32_e32 v11, 0x200, v0
	v_add_nc_u32_e32 v12, 0x400, v0
	ds_read_b32 v18, v17
	ds_read2_b32 v[15:16], v0 offset0:130 offset1:169
	ds_read2_b32 v[9:10], v0 offset0:39 offset1:78
	;; [unrolled: 1-line block ×4, first 2 shown]
	s_and_saveexec_b32 s1, s0
	s_cbranch_execz .LBB0_16
; %bb.15:
	ds_read2_b32 v[7:8], v0 offset0:117 offset1:247
	ds_read_b32 v29, v0 offset:1508
	s_waitcnt lgkmcnt(1)
	v_lshrrev_b32_e32 v28, 16, v7
	s_waitcnt lgkmcnt(0)
	v_lshrrev_b32_e32 v31, 16, v29
	v_lshrrev_b32_e32 v34, 16, v8
.LBB0_16:
	s_or_b32 exec_lo, exec_lo, s1
	v_and_b32_e32 v19, 0xff, v6
	v_add_nc_u16 v20, v6, 39
	v_add_nc_u16 v23, v6, 0x4e
	s_waitcnt lgkmcnt(3)
	v_lshrrev_b32_e32 v41, 16, v15
	s_waitcnt lgkmcnt(1)
	v_lshrrev_b32_e32 v42, 16, v14
	v_mul_lo_u16 v19, 0x4f, v19
	v_and_b32_e32 v21, 0xff, v20
	v_and_b32_e32 v22, 0xff, v23
	v_lshrrev_b32_e32 v43, 16, v16
	s_waitcnt lgkmcnt(0)
	v_lshrrev_b32_e32 v44, 16, v11
	v_lshrrev_b16 v27, 10, v19
	v_mul_lo_u16 v21, 0x4f, v21
	v_mul_lo_u16 v22, 0x4f, v22
	v_mov_b32_e32 v19, 3
	v_lshrrev_b32_e32 v45, 16, v13
	v_mul_lo_u16 v24, v27, 13
	v_lshrrev_b16 v32, 10, v21
	v_lshrrev_b16 v35, 10, v22
	v_and_b32_e32 v27, 0xffff, v27
	v_lshrrev_b32_e32 v46, 16, v12
	v_sub_nc_u16 v33, v6, v24
	v_mul_lo_u16 v21, v32, 13
	v_mul_lo_u16 v24, v35, 13
	v_mad_u32_u24 v27, 0x9c, v27, 0
	v_and_b32_e32 v32, 0xffff, v32
	v_lshlrev_b32_sdwa v22, v19, v33 dst_sel:DWORD dst_unused:UNUSED_PAD src0_sel:DWORD src1_sel:BYTE_0
	v_sub_nc_u16 v36, v20, v21
	v_sub_nc_u16 v37, v23, v24
	v_and_b32_e32 v35, 0xffff, v35
	v_mad_u32_u24 v32, 0x9c, v32, 0
	global_load_dwordx2 v[21:22], v22, s[12:13]
	v_lshlrev_b32_sdwa v20, v19, v36 dst_sel:DWORD dst_unused:UNUSED_PAD src0_sel:DWORD src1_sel:BYTE_0
	v_lshlrev_b32_sdwa v25, v19, v37 dst_sel:DWORD dst_unused:UNUSED_PAD src0_sel:DWORD src1_sel:BYTE_0
	v_mad_u32_u24 v35, 0x9c, v35, 0
	v_lshrrev_b32_e32 v38, 16, v18
	s_clause 0x1
	global_load_dwordx2 v[23:24], v20, s[12:13]
	global_load_dwordx2 v[25:26], v25, s[12:13]
	v_mov_b32_e32 v20, 2
	v_lshrrev_b32_e32 v39, 16, v9
	v_lshrrev_b32_e32 v40, 16, v10
	s_waitcnt vmcnt(0)
	s_barrier
	v_lshlrev_b32_sdwa v33, v20, v33 dst_sel:DWORD dst_unused:UNUSED_PAD src0_sel:DWORD src1_sel:BYTE_0
	buffer_gl0_inv
	v_add3_u32 v27, v27, v33, v30
	v_lshlrev_b32_sdwa v33, v20, v36 dst_sel:DWORD dst_unused:UNUSED_PAD src0_sel:DWORD src1_sel:BYTE_0
	v_lshlrev_b32_sdwa v36, v20, v37 dst_sel:DWORD dst_unused:UNUSED_PAD src0_sel:DWORD src1_sel:BYTE_0
	v_add3_u32 v32, v32, v33, v30
	v_add3_u32 v35, v35, v36, v30
	v_mul_f16_sdwa v33, v21, v41 dst_sel:DWORD dst_unused:UNUSED_PAD src0_sel:WORD_1 src1_sel:DWORD
	v_mul_f16_sdwa v37, v21, v15 dst_sel:DWORD dst_unused:UNUSED_PAD src0_sel:WORD_1 src1_sel:DWORD
	;; [unrolled: 1-line block ×5, first 2 shown]
	v_fma_f16 v15, v21, v15, -v33
	v_fmac_f16_e32 v37, v21, v41
	v_fma_f16 v14, v22, v14, -v47
	v_fmac_f16_e32 v48, v22, v42
	v_mul_f16_sdwa v21, v23, v43 dst_sel:DWORD dst_unused:UNUSED_PAD src0_sel:WORD_1 src1_sel:DWORD
	v_mul_f16_sdwa v22, v23, v16 dst_sel:DWORD dst_unused:UNUSED_PAD src0_sel:WORD_1 src1_sel:DWORD
	;; [unrolled: 1-line block ×7, first 2 shown]
	v_fma_f16 v16, v23, v16, -v21
	v_fmac_f16_e32 v22, v23, v43
	v_fma_f16 v11, v24, v11, -v33
	v_fmac_f16_e32 v36, v24, v44
	;; [unrolled: 2-line block ×4, first 2 shown]
	v_add_f16_e32 v21, v18, v15
	v_add_f16_e32 v23, v15, v14
	;; [unrolled: 1-line block ×4, first 2 shown]
	v_sub_f16_e32 v24, v37, v48
	v_sub_f16_e32 v15, v15, v14
	v_add_f16_e32 v14, v21, v14
	v_fmac_f16_e32 v18, -0.5, v23
	v_add_f16_e32 v21, v25, v48
	v_fmac_f16_e32 v38, -0.5, v26
	v_add_f16_e32 v25, v16, v11
	v_sub_f16_e32 v26, v22, v36
	v_add_f16_e32 v33, v39, v22
	v_add_f16_e32 v22, v22, v36
	;; [unrolled: 1-line block ×3, first 2 shown]
	v_sub_f16_e32 v43, v42, v49
	v_add_f16_e32 v44, v40, v42
	v_add_f16_e32 v42, v42, v49
	;; [unrolled: 1-line block ×3, first 2 shown]
	v_sub_f16_e32 v16, v16, v11
	v_fmamk_f16 v45, v24, 0x3aee, v18
	v_fmac_f16_e32 v18, 0xbaee, v24
	v_fmamk_f16 v24, v15, 0xbaee, v38
	v_fma_f16 v9, -0.5, v25, v9
	v_fmac_f16_e32 v39, -0.5, v22
	v_add_f16_e32 v37, v10, v13
	v_sub_f16_e32 v13, v13, v12
	v_fmac_f16_e32 v10, -0.5, v41
	v_fmac_f16_e32 v40, -0.5, v42
	v_fmac_f16_e32 v38, 0x3aee, v15
	v_add_f16_e32 v11, v23, v11
	v_add_f16_e32 v15, v33, v36
	v_pack_b32_f16 v14, v14, v21
	v_fmamk_f16 v21, v26, 0x3aee, v9
	v_fmamk_f16 v23, v16, 0xbaee, v39
	v_pack_b32_f16 v24, v45, v24
	v_fmac_f16_e32 v9, 0xbaee, v26
	v_fmac_f16_e32 v39, 0x3aee, v16
	v_add_f16_e32 v12, v37, v12
	v_add_f16_e32 v22, v44, v49
	v_fmamk_f16 v16, v43, 0x3aee, v10
	v_fmamk_f16 v25, v13, 0xbaee, v40
	v_fmac_f16_e32 v10, 0xbaee, v43
	v_fmac_f16_e32 v40, 0x3aee, v13
	v_pack_b32_f16 v13, v18, v38
	v_pack_b32_f16 v11, v11, v15
	ds_write2_b32 v27, v14, v24 offset1:13
	v_pack_b32_f16 v14, v21, v23
	v_pack_b32_f16 v9, v9, v39
	;; [unrolled: 1-line block ×5, first 2 shown]
	ds_write_b32 v27, v13 offset:104
	ds_write2_b32 v32, v11, v14 offset1:13
	ds_write_b32 v32, v9 offset:104
	ds_write2_b32 v35, v12, v15 offset1:13
	ds_write_b32 v35, v10 offset:104
	s_and_saveexec_b32 s1, s0
	s_cbranch_execz .LBB0_18
; %bb.17:
	v_add_nc_u16 v9, v6, 0x75
	v_and_b32_e32 v10, 0xff, v9
	v_mul_lo_u16 v10, 0x4f, v10
	v_lshrrev_b16 v10, 10, v10
	v_mul_lo_u16 v10, v10, 13
	v_sub_nc_u16 v11, v9, v10
	v_lshlrev_b32_sdwa v9, v19, v11 dst_sel:DWORD dst_unused:UNUSED_PAD src0_sel:DWORD src1_sel:BYTE_0
	v_lshlrev_b32_sdwa v11, v20, v11 dst_sel:DWORD dst_unused:UNUSED_PAD src0_sel:DWORD src1_sel:BYTE_0
	global_load_dwordx2 v[9:10], v9, s[12:13]
	s_waitcnt vmcnt(0)
	v_mul_f16_sdwa v12, v34, v9 dst_sel:DWORD dst_unused:UNUSED_PAD src0_sel:DWORD src1_sel:WORD_1
	v_mul_f16_sdwa v13, v8, v9 dst_sel:DWORD dst_unused:UNUSED_PAD src0_sel:DWORD src1_sel:WORD_1
	;; [unrolled: 1-line block ×4, first 2 shown]
	v_fma_f16 v8, v8, v9, -v12
	v_fmac_f16_e32 v13, v34, v9
	v_fmac_f16_e32 v14, v31, v10
	v_fma_f16 v9, v29, v10, -v15
	v_add3_u32 v10, 0, v11, v30
	v_add_f16_e32 v16, v28, v13
	v_add_f16_e32 v11, v13, v14
	;; [unrolled: 1-line block ×3, first 2 shown]
	v_sub_f16_e32 v12, v8, v9
	v_add_f16_e32 v8, v7, v8
	v_sub_f16_e32 v13, v13, v14
	v_fma_f16 v11, -0.5, v11, v28
	v_fma_f16 v7, -0.5, v15, v7
	v_add_f16_e32 v14, v16, v14
	v_add_f16_e32 v8, v8, v9
	v_fmamk_f16 v9, v12, 0x3aee, v11
	v_fmac_f16_e32 v11, 0xbaee, v12
	v_fmamk_f16 v12, v13, 0xbaee, v7
	v_fmac_f16_e32 v7, 0x3aee, v13
	v_add_nc_u32_e32 v13, 0x400, v10
	v_pack_b32_f16 v8, v8, v14
	v_pack_b32_f16 v9, v12, v9
	;; [unrolled: 1-line block ×3, first 2 shown]
	ds_write2_b32 v13, v8, v7 offset0:95 offset1:108
	ds_write_b32 v10, v9 offset:1508
.LBB0_18:
	s_or_b32 exec_lo, exec_lo, s1
	s_waitcnt lgkmcnt(0)
	s_barrier
	buffer_gl0_inv
	s_and_saveexec_b32 s0, vcc_lo
	s_cbranch_execz .LBB0_20
; %bb.19:
	v_mul_u32_u24_e32 v6, 9, v6
	v_mul_lo_u32 v15, s2, v4
	v_add_nc_u32_e32 v21, 0x400, v0
	v_lshlrev_b32_e32 v6, 2, v6
	s_clause 0x2
	global_load_dwordx4 v[7:10], v6, s[12:13] offset:104
	global_load_dwordx4 v[11:14], v6, s[12:13] offset:120
	global_load_dword v23, v6, s[12:13] offset:136
	v_mul_lo_u32 v6, s3, v3
	v_mad_u64_u32 v[3:4], null, s2, v3, 0
	ds_read_b32 v24, v17
	v_add3_u32 v4, v4, v15, v6
	ds_read2_b32 v[15:16], v0 offset0:39 offset1:78
	ds_read2_b32 v[17:18], v0 offset0:117 offset1:156
	;; [unrolled: 1-line block ×4, first 2 shown]
	ds_read_b32 v25, v0 offset:1404
	v_lshlrev_b64 v[3:4], 2, v[3:4]
	v_mov_b32_e32 v6, 0
	v_lshlrev_b64 v[0:1], 2, v[1:2]
	v_add_co_u32 v26, vcc_lo, s10, v3
	v_add_co_ci_u32_e32 v4, vcc_lo, s11, v4, vcc_lo
	v_lshlrev_b64 v[2:3], 2, v[5:6]
	v_add_co_u32 v0, vcc_lo, v26, v0
	v_add_co_ci_u32_e32 v1, vcc_lo, v4, v1, vcc_lo
	s_waitcnt lgkmcnt(5)
	v_lshrrev_b32_e32 v4, 16, v24
	v_add_co_u32 v0, vcc_lo, v0, v2
	v_add_co_ci_u32_e32 v1, vcc_lo, v1, v3, vcc_lo
	s_waitcnt vmcnt(2)
	v_lshrrev_b32_e32 v3, 16, v8
	v_lshrrev_b32_e32 v5, 16, v9
	s_waitcnt lgkmcnt(4)
	v_mul_f16_sdwa v26, v8, v16 dst_sel:DWORD dst_unused:UNUSED_PAD src0_sel:DWORD src1_sel:WORD_1
	s_waitcnt vmcnt(1)
	v_lshrrev_b32_e32 v28, 16, v11
	v_lshrrev_b32_e32 v30, 16, v13
	;; [unrolled: 1-line block ×3, first 2 shown]
	s_waitcnt lgkmcnt(2)
	v_mul_f16_sdwa v32, v14, v22 dst_sel:DWORD dst_unused:UNUSED_PAD src0_sel:DWORD src1_sel:WORD_1
	s_waitcnt vmcnt(0)
	v_lshrrev_b32_e32 v34, 16, v23
	v_lshrrev_b32_e32 v6, 16, v10
	v_mul_f16_sdwa v27, v10, v18 dst_sel:DWORD dst_unused:UNUSED_PAD src0_sel:DWORD src1_sel:WORD_1
	v_lshrrev_b32_e32 v29, 16, v12
	s_waitcnt lgkmcnt(1)
	v_mul_f16_sdwa v33, v12, v20 dst_sel:DWORD dst_unused:UNUSED_PAD src0_sel:DWORD src1_sel:WORD_1
	v_mul_f16_sdwa v35, v9, v17 dst_sel:DWORD dst_unused:UNUSED_PAD src0_sel:DWORD src1_sel:WORD_1
	s_waitcnt lgkmcnt(0)
	v_mul_f16_sdwa v36, v23, v25 dst_sel:DWORD dst_unused:UNUSED_PAD src0_sel:DWORD src1_sel:WORD_1
	v_mul_f16_sdwa v37, v11, v19 dst_sel:DWORD dst_unused:UNUSED_PAD src0_sel:DWORD src1_sel:WORD_1
	;; [unrolled: 1-line block ×3, first 2 shown]
	v_lshrrev_b32_e32 v2, 16, v7
	v_mul_f16_sdwa v39, v7, v15 dst_sel:DWORD dst_unused:UNUSED_PAD src0_sel:DWORD src1_sel:WORD_1
	v_fmac_f16_e32 v26, v3, v16
	v_fmac_f16_e32 v32, v31, v22
	v_mul_f16_sdwa v3, v3, v16 dst_sel:DWORD dst_unused:UNUSED_PAD src0_sel:DWORD src1_sel:WORD_1
	v_mul_f16_sdwa v31, v31, v22 dst_sel:DWORD dst_unused:UNUSED_PAD src0_sel:DWORD src1_sel:WORD_1
	;; [unrolled: 1-line block ×6, first 2 shown]
	v_fmac_f16_e32 v27, v6, v18
	v_fmac_f16_e32 v33, v29, v20
	v_mul_f16_sdwa v6, v6, v18 dst_sel:DWORD dst_unused:UNUSED_PAD src0_sel:DWORD src1_sel:WORD_1
	v_mul_f16_sdwa v29, v29, v20 dst_sel:DWORD dst_unused:UNUSED_PAD src0_sel:DWORD src1_sel:WORD_1
	v_fmac_f16_e32 v35, v5, v17
	v_fmac_f16_e32 v36, v25, v34
	;; [unrolled: 1-line block ×4, first 2 shown]
	v_mul_f16_sdwa v44, v2, v15 dst_sel:DWORD dst_unused:UNUSED_PAD src0_sel:DWORD src1_sel:WORD_1
	v_fmac_f16_e32 v39, v2, v15
	v_fma_f16 v3, v8, v16, -v3
	v_fma_f16 v8, v22, v14, -v31
	;; [unrolled: 1-line block ×8, first 2 shown]
	v_add_f16_e32 v12, v27, v33
	v_sub_f16_e32 v17, v35, v37
	v_sub_f16_e32 v18, v36, v38
	v_add_f16_e32 v19, v37, v38
	v_sub_f16_e32 v20, v27, v26
	v_sub_f16_e32 v21, v33, v32
	;; [unrolled: 3-line block ×3, first 2 shown]
	v_add_f16_e32 v28, v35, v36
	v_fma_f16 v7, v7, v15, -v44
	v_sub_f16_e32 v15, v35, v36
	v_add_f16_e32 v29, v26, v4
	v_add_f16_e32 v30, v35, v39
	v_sub_f16_e32 v35, v9, v11
	v_sub_f16_e32 v40, v14, v13
	v_add_f16_e32 v41, v11, v13
	v_fma_f16 v12, -0.5, v12, v4
	v_add_f16_e32 v17, v17, v18
	v_sub_f16_e32 v18, v11, v13
	v_sub_f16_e32 v42, v9, v14
	v_fma_f16 v19, -0.5, v19, v39
	v_add_f16_e32 v20, v20, v21
	v_fma_f16 v4, -0.5, v22, v4
	v_sub_f16_e32 v21, v11, v9
	v_sub_f16_e32 v22, v13, v14
	v_add_f16_e32 v43, v9, v14
	v_add_f16_e32 v23, v23, v25
	v_fma_f16 v25, -0.5, v28, v39
	v_sub_f16_e32 v2, v26, v27
	v_sub_f16_e32 v5, v32, v33
	;; [unrolled: 1-line block ×4, first 2 shown]
	v_add_f16_e32 v27, v27, v29
	v_sub_f16_e32 v29, v3, v6
	v_sub_f16_e32 v39, v6, v3
	v_add_f16_e32 v45, v3, v8
	v_add_f16_e32 v3, v3, v24
	;; [unrolled: 1-line block ×4, first 2 shown]
	v_fma_f16 v40, -0.5, v41, v7
	v_sub_f16_e32 v16, v37, v38
	v_fmamk_f16 v41, v42, 0x3b9c, v19
	v_add_f16_e32 v21, v21, v22
	v_fma_f16 v7, -0.5, v43, v7
	v_fmamk_f16 v22, v18, 0xbb9c, v25
	v_add_f16_e32 v2, v2, v5
	v_sub_f16_e32 v5, v6, v10
	v_add_f16_e32 v28, v37, v30
	v_sub_f16_e32 v30, v8, v10
	v_add_f16_e32 v37, v6, v10
	v_fmac_f16_e32 v19, 0xbb9c, v42
	v_add_f16_e32 v3, v6, v3
	v_add_f16_e32 v6, v11, v9
	v_fmamk_f16 v9, v15, 0xbb9c, v40
	v_fmac_f16_e32 v40, 0x3b9c, v15
	v_fmac_f16_e32 v25, 0x3b9c, v18
	;; [unrolled: 1-line block ×3, first 2 shown]
	v_fmamk_f16 v11, v16, 0x3b9c, v7
	v_fmac_f16_e32 v22, 0x38b4, v42
	v_fmac_f16_e32 v7, 0xbb9c, v16
	v_sub_f16_e32 v26, v26, v32
	v_fmamk_f16 v46, v34, 0x3b9c, v12
	v_fmac_f16_e32 v12, 0xbb9c, v34
	v_add_f16_e32 v27, v33, v27
	v_add_f16_e32 v28, v38, v28
	;; [unrolled: 1-line block ×3, first 2 shown]
	v_fma_f16 v30, -0.5, v37, v24
	v_fmac_f16_e32 v19, 0xb8b4, v18
	v_add_f16_e32 v3, v10, v3
	v_add_f16_e32 v6, v13, v6
	v_fmac_f16_e32 v40, 0x38b4, v16
	v_fma_f16 v24, -0.5, v45, v24
	v_fmac_f16_e32 v25, 0xb8b4, v42
	v_fmac_f16_e32 v9, 0xb8b4, v16
	;; [unrolled: 1-line block ×6, first 2 shown]
	v_fmamk_f16 v47, v5, 0xbb9c, v4
	v_fmac_f16_e32 v4, 0x3b9c, v5
	v_fmac_f16_e32 v46, 0x38b4, v5
	;; [unrolled: 1-line block ×3, first 2 shown]
	v_add_f16_e32 v5, v32, v27
	v_add_f16_e32 v18, v36, v28
	v_fmamk_f16 v27, v26, 0xbb9c, v30
	v_fmac_f16_e32 v30, 0x3b9c, v26
	v_fmac_f16_e32 v19, 0x34f2, v17
	v_add_f16_e32 v3, v8, v3
	v_add_f16_e32 v6, v14, v6
	v_fmac_f16_e32 v40, 0x34f2, v35
	v_sub_f16_e32 v44, v10, v8
	v_fmamk_f16 v28, v31, 0x3b9c, v24
	v_fmac_f16_e32 v24, 0xbb9c, v31
	v_fmac_f16_e32 v25, 0x34f2, v23
	;; [unrolled: 1-line block ×3, first 2 shown]
	v_mul_f16_e32 v8, 0x3a79, v41
	v_fmac_f16_e32 v11, 0x34f2, v21
	v_mul_f16_e32 v10, 0x34f2, v22
	v_fmac_f16_e32 v7, 0x34f2, v21
	v_fmac_f16_e32 v46, 0x34f2, v2
	;; [unrolled: 1-line block ×3, first 2 shown]
	v_sub_f16_e32 v2, v5, v18
	v_fmac_f16_e32 v30, 0x38b4, v31
	v_add_f16_e32 v5, v5, v18
	v_mul_f16_e32 v14, 0x38b4, v19
	v_sub_f16_e32 v15, v3, v6
	v_add_f16_e32 v3, v3, v6
	v_mul_f16_e32 v16, 0xb8b4, v40
	v_add_f16_e32 v33, v39, v44
	v_fmac_f16_e32 v4, 0xb8b4, v34
	v_fmac_f16_e32 v24, 0x38b4, v26
	v_mul_f16_e32 v13, 0x3b9c, v25
	v_fma_f16 v6, v9, 0xb8b4, -v8
	v_fma_f16 v8, v11, 0xbb9c, -v10
	v_mul_f16_e32 v10, 0xbb9c, v7
	v_fmac_f16_e32 v47, 0x38b4, v34
	v_fmac_f16_e32 v28, 0xb8b4, v26
	v_mul_f16_e32 v11, 0x34f2, v11
	v_fmac_f16_e32 v27, 0xb8b4, v31
	v_mul_f16_e32 v9, 0x3a79, v9
	v_fmac_f16_e32 v30, 0x34f2, v29
	v_fmac_f16_e32 v14, 0x3a79, v40
	v_pack_b32_f16 v3, v3, v5
	v_fmac_f16_e32 v16, 0x3a79, v19
	v_fmac_f16_e32 v4, 0x34f2, v20
	;; [unrolled: 1-line block ×4, first 2 shown]
	v_pack_b32_f16 v2, v15, v2
	v_fmac_f16_e32 v10, 0x34f2, v25
	v_fmac_f16_e32 v47, 0x34f2, v20
	;; [unrolled: 1-line block ×3, first 2 shown]
	v_fma_f16 v11, v22, 0x3b9c, -v11
	v_fmac_f16_e32 v27, 0x34f2, v29
	v_fma_f16 v9, v41, 0x38b4, -v9
	v_sub_f16_e32 v17, v30, v14
	v_add_f16_e32 v14, v30, v14
	global_store_dword v[0:1], v3, off
	global_store_dword v[0:1], v2, off offset:780
	v_sub_f16_e32 v3, v12, v16
	v_add_f16_e32 v12, v12, v16
	v_sub_f16_e32 v15, v24, v13
	v_add_f16_e32 v13, v24, v13
	;; [unrolled: 2-line block ×4, first 2 shown]
	v_add_f16_e32 v10, v28, v11
	v_sub_f16_e32 v5, v46, v6
	v_add_f16_e32 v6, v46, v6
	v_sub_f16_e32 v18, v27, v9
	;; [unrolled: 2-line block ×3, first 2 shown]
	v_pack_b32_f16 v12, v14, v12
	v_pack_b32_f16 v4, v13, v4
	;; [unrolled: 1-line block ×8, first 2 shown]
	global_store_dword v[0:1], v12, off offset:156
	global_store_dword v[0:1], v4, off offset:312
	;; [unrolled: 1-line block ×8, first 2 shown]
.LBB0_20:
	s_endpgm
	.section	.rodata,"a",@progbits
	.p2align	6, 0x0
	.amdhsa_kernel fft_rtc_fwd_len390_factors_13_3_10_wgs_117_tpt_39_half_op_CI_CI_unitstride_sbrr_dirReg
		.amdhsa_group_segment_fixed_size 0
		.amdhsa_private_segment_fixed_size 0
		.amdhsa_kernarg_size 104
		.amdhsa_user_sgpr_count 6
		.amdhsa_user_sgpr_private_segment_buffer 1
		.amdhsa_user_sgpr_dispatch_ptr 0
		.amdhsa_user_sgpr_queue_ptr 0
		.amdhsa_user_sgpr_kernarg_segment_ptr 1
		.amdhsa_user_sgpr_dispatch_id 0
		.amdhsa_user_sgpr_flat_scratch_init 0
		.amdhsa_user_sgpr_private_segment_size 0
		.amdhsa_wavefront_size32 1
		.amdhsa_uses_dynamic_stack 0
		.amdhsa_system_sgpr_private_segment_wavefront_offset 0
		.amdhsa_system_sgpr_workgroup_id_x 1
		.amdhsa_system_sgpr_workgroup_id_y 0
		.amdhsa_system_sgpr_workgroup_id_z 0
		.amdhsa_system_sgpr_workgroup_info 0
		.amdhsa_system_vgpr_workitem_id 0
		.amdhsa_next_free_vgpr 124
		.amdhsa_next_free_sgpr 27
		.amdhsa_reserve_vcc 1
		.amdhsa_reserve_flat_scratch 0
		.amdhsa_float_round_mode_32 0
		.amdhsa_float_round_mode_16_64 0
		.amdhsa_float_denorm_mode_32 3
		.amdhsa_float_denorm_mode_16_64 3
		.amdhsa_dx10_clamp 1
		.amdhsa_ieee_mode 1
		.amdhsa_fp16_overflow 0
		.amdhsa_workgroup_processor_mode 1
		.amdhsa_memory_ordered 1
		.amdhsa_forward_progress 0
		.amdhsa_shared_vgpr_count 0
		.amdhsa_exception_fp_ieee_invalid_op 0
		.amdhsa_exception_fp_denorm_src 0
		.amdhsa_exception_fp_ieee_div_zero 0
		.amdhsa_exception_fp_ieee_overflow 0
		.amdhsa_exception_fp_ieee_underflow 0
		.amdhsa_exception_fp_ieee_inexact 0
		.amdhsa_exception_int_div_zero 0
	.end_amdhsa_kernel
	.text
.Lfunc_end0:
	.size	fft_rtc_fwd_len390_factors_13_3_10_wgs_117_tpt_39_half_op_CI_CI_unitstride_sbrr_dirReg, .Lfunc_end0-fft_rtc_fwd_len390_factors_13_3_10_wgs_117_tpt_39_half_op_CI_CI_unitstride_sbrr_dirReg
                                        ; -- End function
	.section	.AMDGPU.csdata,"",@progbits
; Kernel info:
; codeLenInByte = 7664
; NumSgprs: 29
; NumVgprs: 124
; ScratchSize: 0
; MemoryBound: 0
; FloatMode: 240
; IeeeMode: 1
; LDSByteSize: 0 bytes/workgroup (compile time only)
; SGPRBlocks: 3
; VGPRBlocks: 15
; NumSGPRsForWavesPerEU: 29
; NumVGPRsForWavesPerEU: 124
; Occupancy: 8
; WaveLimiterHint : 1
; COMPUTE_PGM_RSRC2:SCRATCH_EN: 0
; COMPUTE_PGM_RSRC2:USER_SGPR: 6
; COMPUTE_PGM_RSRC2:TRAP_HANDLER: 0
; COMPUTE_PGM_RSRC2:TGID_X_EN: 1
; COMPUTE_PGM_RSRC2:TGID_Y_EN: 0
; COMPUTE_PGM_RSRC2:TGID_Z_EN: 0
; COMPUTE_PGM_RSRC2:TIDIG_COMP_CNT: 0
	.text
	.p2alignl 6, 3214868480
	.fill 48, 4, 3214868480
	.type	__hip_cuid_602c429d50cb812e,@object ; @__hip_cuid_602c429d50cb812e
	.section	.bss,"aw",@nobits
	.globl	__hip_cuid_602c429d50cb812e
__hip_cuid_602c429d50cb812e:
	.byte	0                               ; 0x0
	.size	__hip_cuid_602c429d50cb812e, 1

	.ident	"AMD clang version 19.0.0git (https://github.com/RadeonOpenCompute/llvm-project roc-6.4.0 25133 c7fe45cf4b819c5991fe208aaa96edf142730f1d)"
	.section	".note.GNU-stack","",@progbits
	.addrsig
	.addrsig_sym __hip_cuid_602c429d50cb812e
	.amdgpu_metadata
---
amdhsa.kernels:
  - .args:
      - .actual_access:  read_only
        .address_space:  global
        .offset:         0
        .size:           8
        .value_kind:     global_buffer
      - .offset:         8
        .size:           8
        .value_kind:     by_value
      - .actual_access:  read_only
        .address_space:  global
        .offset:         16
        .size:           8
        .value_kind:     global_buffer
      - .actual_access:  read_only
        .address_space:  global
        .offset:         24
        .size:           8
        .value_kind:     global_buffer
      - .actual_access:  read_only
        .address_space:  global
        .offset:         32
        .size:           8
        .value_kind:     global_buffer
      - .offset:         40
        .size:           8
        .value_kind:     by_value
      - .actual_access:  read_only
        .address_space:  global
        .offset:         48
        .size:           8
        .value_kind:     global_buffer
      - .actual_access:  read_only
        .address_space:  global
        .offset:         56
        .size:           8
        .value_kind:     global_buffer
      - .offset:         64
        .size:           4
        .value_kind:     by_value
      - .actual_access:  read_only
        .address_space:  global
        .offset:         72
        .size:           8
        .value_kind:     global_buffer
      - .actual_access:  read_only
        .address_space:  global
        .offset:         80
        .size:           8
        .value_kind:     global_buffer
      - .actual_access:  read_only
        .address_space:  global
        .offset:         88
        .size:           8
        .value_kind:     global_buffer
      - .actual_access:  write_only
        .address_space:  global
        .offset:         96
        .size:           8
        .value_kind:     global_buffer
    .group_segment_fixed_size: 0
    .kernarg_segment_align: 8
    .kernarg_segment_size: 104
    .language:       OpenCL C
    .language_version:
      - 2
      - 0
    .max_flat_workgroup_size: 117
    .name:           fft_rtc_fwd_len390_factors_13_3_10_wgs_117_tpt_39_half_op_CI_CI_unitstride_sbrr_dirReg
    .private_segment_fixed_size: 0
    .sgpr_count:     29
    .sgpr_spill_count: 0
    .symbol:         fft_rtc_fwd_len390_factors_13_3_10_wgs_117_tpt_39_half_op_CI_CI_unitstride_sbrr_dirReg.kd
    .uniform_work_group_size: 1
    .uses_dynamic_stack: false
    .vgpr_count:     124
    .vgpr_spill_count: 0
    .wavefront_size: 32
    .workgroup_processor_mode: 1
amdhsa.target:   amdgcn-amd-amdhsa--gfx1030
amdhsa.version:
  - 1
  - 2
...

	.end_amdgpu_metadata
